;; amdgpu-corpus repo=FlagOpen/FlagGems kind=triton arch=gfx950 opt=O3 lang=triton
	.amdgcn_target "amdgcn-amd-amdhsa--gfx950"
	.amdhsa_code_object_version 5
	.text
	.globl	mv_kernel                       ; -- Begin function mv_kernel
	.p2align	8
	.type	mv_kernel,@function
mv_kernel:                              ; @mv_kernel
.Lfunc_begin0:
	.cfi_sections .debug_frame
	.cfi_startproc
; %bb.81:
	.file	1 "/root/src/amdgpu-assembly/repos/FlagOpen__FlagGems/triton_aot_kernels" "mv_aot.py"
	.loc	1 8 0 prologue_end              ; mv_aot.py:8:0
	s_load_dwordx2 s[2:3], s[0:1], 0x0
	s_load_dwordx8 s[4:11], s[0:1], 0x8
	s_load_dwordx4 s[12:15], s[0:1], 0x28
	s_waitcnt lgkmcnt(0)
	s_branch .LBB0_0
	.loc	1 0 0 is_stmt 0                 ; :0:0
.Ltmp0:
	.p2align	8
; %bb.82:
.LBB0_0:
.Ltmp1:
	.loc	1 38 21 is_stmt 1               ; mv_aot.py:38:21
	v_readfirstlane_b32 s53, v0
	.loc	1 22 21                         ; mv_aot.py:22:21
	s_lshl_b32 s52, s16, 4
	.loc	1 22 53 is_stmt 0               ; mv_aot.py:22:53
	s_and_b32 s33, s53, 0xc0
	v_and_b32_e32 v1, 63, v0
	.loc	1 28 25 is_stmt 1               ; mv_aot.py:28:25
	s_cmp_lt_i32 s9, 1
	v_mov_b32_e32 v17, 0
	v_mov_b32_e32 v16, 0
	;; [unrolled: 1-line block ×16, first 2 shown]
	s_cbranch_scc1 .LBB0_72
; %bb.1:                                ; %.lr.ph
	.loc	1 22 31                         ; mv_aot.py:22:31
	s_or_b32 s0, s52, 1
	s_or_b32 s1, s52, 2
	;; [unrolled: 1-line block ×15, first 2 shown]
	.loc	1 24 24                         ; mv_aot.py:24:24
	s_cmp_lt_i32 s52, s8
	s_cselect_b64 s[14:15], -1, 0
	s_cmp_lt_i32 s0, s8
	s_cselect_b64 s[16:17], -1, 0
	;; [unrolled: 2-line block ×14, first 2 shown]
	s_cmp_lt_i32 s44, s8
	.loc	1 28 25                         ; mv_aot.py:28:25
	v_add_u32_e32 v138, s33, v1
	.loc	1 24 24                         ; mv_aot.py:24:24
	s_cselect_b64 s[44:45], -1, 0
	s_cmp_lt_i32 s46, s8
	.loc	1 28 25                         ; mv_aot.py:28:25
	v_add_u32_e32 v6, 0x100, v138
	.loc	1 24 24                         ; mv_aot.py:24:24
	s_cselect_b64 s[46:47], -1, 0
	.loc	1 34 28                         ; mv_aot.py:34:28
	s_lshl_b32 s48, s12, 9
	.loc	1 28 25                         ; mv_aot.py:28:25
	v_mul_lo_u32 v2, s12, v6
	v_mul_lo_u32 v4, s12, v138
	s_add_i32 s12, s52, 15
	v_mul_lo_u32 v6, s11, v6
	s_mul_i32 s54, s10, s12
	v_mul_lo_u32 v8, s11, v138
	v_ashrrev_i32_e32 v7, 31, v6
	s_ashr_i32 s55, s54, 31
	v_ashrrev_i32_e32 v9, 31, v8
	.loc	1 33 28                         ; mv_aot.py:33:28
	s_lshl_b32 s50, s11, 9
	.loc	1 28 25                         ; mv_aot.py:28:25
	v_lshlrev_b64 v[56:57], 2, v[6:7]
	s_lshl_b64 s[54:55], s[54:55], 2
	v_lshlrev_b64 v[58:59], 2, v[8:9]
	s_add_i32 s11, s52, 14
	v_lshl_add_u64 v[6:7], v[56:57], 0, s[54:55]
	v_lshl_add_u64 v[8:9], v[58:59], 0, s[54:55]
	s_mul_i32 s54, s10, s11
	s_ashr_i32 s55, s54, 31
	s_lshl_b64 s[54:55], s[54:55], 2
	s_add_i32 s11, s52, 13
	v_lshl_add_u64 v[10:11], v[56:57], 0, s[54:55]
	v_lshl_add_u64 v[12:13], v[58:59], 0, s[54:55]
	s_mul_i32 s54, s10, s11
	s_ashr_i32 s55, s54, 31
	s_lshl_b64 s[54:55], s[54:55], 2
	;; [unrolled: 6-line block ×9, first 2 shown]
	s_add_i32 s11, s52, 5
	v_lshl_add_u64 v[42:43], v[56:57], 0, s[54:55]
	v_lshl_add_u64 v[44:45], v[58:59], 0, s[54:55]
	s_mul_i32 s54, s10, s11
	s_add_i32 s11, s52, 4
	s_mul_i32 s56, s10, s11
	s_add_i32 s11, s52, 3
	;; [unrolled: 2-line block ×4, first 2 shown]
	.loc	1 25 28                         ; mv_aot.py:25:28
	s_mul_i32 s0, s10, s52
	.loc	1 28 25                         ; mv_aot.py:28:25
	s_mul_i32 s10, s10, s11
	.loc	1 25 17                         ; mv_aot.py:25:17
	s_ashr_i32 s1, s0, 31
	.loc	1 28 25                         ; mv_aot.py:28:25
	s_ashr_i32 s55, s54, 31
	s_ashr_i32 s57, s56, 31
	;; [unrolled: 1-line block ×5, first 2 shown]
	s_lshl_b64 s[54:55], s[54:55], 2
	s_lshl_b64 s[56:57], s[56:57], 2
	;; [unrolled: 1-line block ×6, first 2 shown]
	s_ashr_i32 s51, s50, 31
	s_ashr_i32 s49, s48, 31
	v_ashrrev_i32_e32 v3, 31, v2
	v_ashrrev_i32_e32 v5, 31, v4
	v_lshl_add_u64 v[60:61], v[58:59], 0, s[54:55]
	v_lshl_add_u64 v[62:63], v[58:59], 0, s[56:57]
	;; [unrolled: 1-line block ×6, first 2 shown]
	v_mov_b32_e32 v58, 0
	v_lshlrev_b64 v[2:3], 2, v[2:3]
	s_lshl_b64 s[48:49], s[48:49], 2
	v_lshlrev_b64 v[4:5], 2, v[4:5]
	s_lshl_b64 s[50:51], s[50:51], 2
	v_lshl_add_u64 v[46:47], v[56:57], 0, s[54:55]
	v_lshl_add_u64 v[48:49], v[56:57], 0, s[56:57]
	v_lshl_add_u64 v[50:51], v[56:57], 0, s[58:59]
	v_lshl_add_u64 v[52:53], v[56:57], 0, s[60:61]
	v_lshl_add_u64 v[54:55], v[56:57], 0, s[10:11]
	v_lshl_add_u64 v[56:57], s[0:1], 0, v[56:57]
	s_mov_b32 s12, 0
	v_mov_b32_e32 v59, v58
	v_mov_b32_e32 v72, v58
	;; [unrolled: 1-line block ×31, first 2 shown]
	s_branch .LBB0_3
.LBB0_2:                                ;   in Loop: Header=BB0_3 Depth=1
	.loc	1 0 25 is_stmt 0                ; mv_aot.py:0:25
	s_or_b64 exec, exec, s[0:1]
	.loc	1 28 25 is_stmt 1               ; mv_aot.py:28:25
	s_addk_i32 s12, 0x200
	s_add_u32 s4, s4, s48
	s_addc_u32 s5, s5, s49
	s_add_u32 s2, s2, s50
	.loc	1 31 20                         ; mv_aot.py:31:20
	s_waitcnt vmcnt(0)
	v_mov_b32_e32 v137, v136
	.loc	1 32 19                         ; mv_aot.py:32:19
	v_mov_b32_e32 v135, v134
	.loc	1 28 25                         ; mv_aot.py:28:25
	s_addc_u32 s3, s3, s51
	.loc	1 32 15                         ; mv_aot.py:32:15
	v_pk_fma_f32 v[100:101], v[102:103], v[136:137], v[100:101]
	v_pk_fma_f32 v[98:99], v[104:105], v[134:135], v[98:99]
	v_pk_fma_f32 v[96:97], v[106:107], v[136:137], v[96:97]
	v_pk_fma_f32 v[94:95], v[108:109], v[134:135], v[94:95]
	v_pk_fma_f32 v[92:93], v[110:111], v[136:137], v[92:93]
	v_pk_fma_f32 v[90:91], v[112:113], v[134:135], v[90:91]
	v_pk_fma_f32 v[88:89], v[114:115], v[136:137], v[88:89]
	v_pk_fma_f32 v[86:87], v[116:117], v[134:135], v[86:87]
	v_pk_fma_f32 v[84:85], v[118:119], v[136:137], v[84:85]
	v_pk_fma_f32 v[82:83], v[120:121], v[134:135], v[82:83]
	v_pk_fma_f32 v[80:81], v[122:123], v[136:137], v[80:81]
	v_pk_fma_f32 v[78:79], v[124:125], v[134:135], v[78:79]
	v_pk_fma_f32 v[76:77], v[126:127], v[136:137], v[76:77]
	v_pk_fma_f32 v[74:75], v[128:129], v[134:135], v[74:75]
	v_pk_fma_f32 v[72:73], v[132:133], v[136:137], v[72:73]
	.loc	1 28 25                         ; mv_aot.py:28:25
	s_cmp_lt_i32 s12, s9
	.loc	1 32 15                         ; mv_aot.py:32:15
	v_pk_fma_f32 v[58:59], v[130:131], v[134:135], v[58:59]
	.loc	1 28 25                         ; mv_aot.py:28:25
	s_cbranch_scc0 .LBB0_71
.LBB0_3:                                ; =>This Inner Loop Header: Depth=1
	.loc	1 29 21                         ; mv_aot.py:29:21
	v_add_u32_e32 v103, s12, v138
	.loc	1 29 32 is_stmt 0               ; mv_aot.py:29:32
	v_cmp_gt_i32_e64 s[0:1], s9, v103
	.loc	1 30 42 is_stmt 1               ; mv_aot.py:30:42
	s_and_b64 s[54:55], s[14:15], s[0:1]
	v_mov_b32_e32 v102, 0
	.loc	1 30 20 is_stmt 0               ; mv_aot.py:30:20
	s_and_saveexec_b64 s[10:11], s[54:55]
	s_cbranch_execz .LBB0_5
; %bb.4:                                ;   in Loop: Header=BB0_3 Depth=1
	.loc	1 29 21 is_stmt 1               ; mv_aot.py:29:21
	v_lshl_add_u64 v[104:105], s[2:3], 0, v[70:71]
	.loc	1 30 20                         ; mv_aot.py:30:20
	global_load_dword v102, v[104:105], off
.LBB0_5:                                ;   in Loop: Header=BB0_3 Depth=1
	.loc	1 0 20 is_stmt 0                ; mv_aot.py:0:20
	s_or_b64 exec, exec, s[10:11]
	.loc	1 29 32 is_stmt 1               ; mv_aot.py:29:32
	v_add_u32_e32 v103, 0x100, v103
	v_cmp_gt_i32_e32 vcc, s9, v103
	.loc	1 30 42                         ; mv_aot.py:30:42
	s_and_b64 s[54:55], s[14:15], vcc
	v_mov_b32_e32 v103, 0
	v_mov_b32_e32 v104, 0
	.loc	1 30 20 is_stmt 0               ; mv_aot.py:30:20
	s_and_saveexec_b64 s[10:11], s[54:55]
	s_cbranch_execz .LBB0_7
; %bb.6:                                ;   in Loop: Header=BB0_3 Depth=1
	.loc	1 29 21 is_stmt 1               ; mv_aot.py:29:21
	v_lshl_add_u64 v[104:105], s[2:3], 0, v[56:57]
	.loc	1 30 20                         ; mv_aot.py:30:20
	global_load_dword v104, v[104:105], off
.LBB0_7:                                ;   in Loop: Header=BB0_3 Depth=1
	.loc	1 0 20 is_stmt 0                ; mv_aot.py:0:20
	s_or_b64 exec, exec, s[10:11]
	.loc	1 30 42                         ; mv_aot.py:30:42
	s_and_b64 s[54:55], s[16:17], s[0:1]
	.loc	1 30 20                         ; mv_aot.py:30:20
	s_and_saveexec_b64 s[10:11], s[54:55]
	s_cbranch_execz .LBB0_9
; %bb.8:                                ;   in Loop: Header=BB0_3 Depth=1
	.loc	1 29 21 is_stmt 1               ; mv_aot.py:29:21
	v_lshl_add_u64 v[106:107], s[2:3], 0, v[68:69]
	.loc	1 30 20                         ; mv_aot.py:30:20
	global_load_dword v103, v[106:107], off
.LBB0_9:                                ;   in Loop: Header=BB0_3 Depth=1
	.loc	1 0 20 is_stmt 0                ; mv_aot.py:0:20
	s_or_b64 exec, exec, s[10:11]
	.loc	1 30 42                         ; mv_aot.py:30:42
	s_and_b64 s[54:55], s[16:17], vcc
	v_mov_b32_e32 v106, 0
	v_mov_b32_e32 v105, 0
	.loc	1 30 20                         ; mv_aot.py:30:20
	s_and_saveexec_b64 s[10:11], s[54:55]
	s_cbranch_execz .LBB0_11
; %bb.10:                               ;   in Loop: Header=BB0_3 Depth=1
	.loc	1 29 21 is_stmt 1               ; mv_aot.py:29:21
	v_lshl_add_u64 v[108:109], s[2:3], 0, v[54:55]
	.loc	1 30 20                         ; mv_aot.py:30:20
	global_load_dword v105, v[108:109], off
.LBB0_11:                               ;   in Loop: Header=BB0_3 Depth=1
	.loc	1 0 20 is_stmt 0                ; mv_aot.py:0:20
	s_or_b64 exec, exec, s[10:11]
	.loc	1 30 42                         ; mv_aot.py:30:42
	s_and_b64 s[54:55], s[18:19], s[0:1]
	.loc	1 30 20                         ; mv_aot.py:30:20
	s_and_saveexec_b64 s[10:11], s[54:55]
	s_cbranch_execz .LBB0_13
; %bb.12:                               ;   in Loop: Header=BB0_3 Depth=1
	.loc	1 29 21 is_stmt 1               ; mv_aot.py:29:21
	v_lshl_add_u64 v[106:107], s[2:3], 0, v[66:67]
	.loc	1 30 20                         ; mv_aot.py:30:20
	global_load_dword v106, v[106:107], off
.LBB0_13:                               ;   in Loop: Header=BB0_3 Depth=1
	.loc	1 0 20 is_stmt 0                ; mv_aot.py:0:20
	s_or_b64 exec, exec, s[10:11]
	.loc	1 30 42                         ; mv_aot.py:30:42
	s_and_b64 s[54:55], s[18:19], vcc
	v_mov_b32_e32 v107, 0
	v_mov_b32_e32 v108, 0
	.loc	1 30 20                         ; mv_aot.py:30:20
	s_and_saveexec_b64 s[10:11], s[54:55]
	s_cbranch_execz .LBB0_15
; %bb.14:                               ;   in Loop: Header=BB0_3 Depth=1
	.loc	1 29 21 is_stmt 1               ; mv_aot.py:29:21
	v_lshl_add_u64 v[108:109], s[2:3], 0, v[52:53]
	.loc	1 30 20                         ; mv_aot.py:30:20
	global_load_dword v108, v[108:109], off
.LBB0_15:                               ;   in Loop: Header=BB0_3 Depth=1
	.loc	1 0 20 is_stmt 0                ; mv_aot.py:0:20
	s_or_b64 exec, exec, s[10:11]
	.loc	1 30 42                         ; mv_aot.py:30:42
	s_and_b64 s[54:55], s[20:21], s[0:1]
	.loc	1 30 20                         ; mv_aot.py:30:20
	s_and_saveexec_b64 s[10:11], s[54:55]
	s_cbranch_execz .LBB0_17
; %bb.16:                               ;   in Loop: Header=BB0_3 Depth=1
	.loc	1 29 21 is_stmt 1               ; mv_aot.py:29:21
	v_lshl_add_u64 v[110:111], s[2:3], 0, v[64:65]
	.loc	1 30 20                         ; mv_aot.py:30:20
	global_load_dword v107, v[110:111], off
.LBB0_17:                               ;   in Loop: Header=BB0_3 Depth=1
	;; [unrolled: 28-line block ×14, first 2 shown]
	.loc	1 0 20 is_stmt 0                ; mv_aot.py:0:20
	s_or_b64 exec, exec, s[10:11]
	.loc	1 30 42                         ; mv_aot.py:30:42
	s_and_b64 s[54:55], s[46:47], vcc
	v_mov_b32_e32 v136, 0
	v_mov_b32_e32 v131, 0
	.loc	1 30 20                         ; mv_aot.py:30:20
	s_and_saveexec_b64 s[10:11], s[54:55]
	s_cbranch_execnz .LBB0_68
; %bb.66:                               ;   in Loop: Header=BB0_3 Depth=1
	.loc	1 0 20                          ; mv_aot.py:0:20
	s_or_b64 exec, exec, s[10:11]
	.loc	1 31 20 is_stmt 1               ; mv_aot.py:31:20
	s_and_saveexec_b64 s[10:11], s[0:1]
	s_cbranch_execnz .LBB0_69
.LBB0_67:                               ;   in Loop: Header=BB0_3 Depth=1
	.loc	1 0 20 is_stmt 0                ; mv_aot.py:0:20
	s_or_b64 exec, exec, s[10:11]
	v_mov_b32_e32 v134, 0
	.loc	1 31 20                         ; mv_aot.py:31:20
	s_and_saveexec_b64 s[0:1], vcc
	s_cbranch_execz .LBB0_2
	s_branch .LBB0_70
.LBB0_68:                               ;   in Loop: Header=BB0_3 Depth=1
	.loc	1 29 21 is_stmt 1               ; mv_aot.py:29:21
	v_lshl_add_u64 v[134:135], s[2:3], 0, v[6:7]
	.loc	1 30 20                         ; mv_aot.py:30:20
	global_load_dword v131, v[134:135], off
	s_or_b64 exec, exec, s[10:11]
	.loc	1 31 20                         ; mv_aot.py:31:20
	s_and_saveexec_b64 s[10:11], s[0:1]
	s_cbranch_execz .LBB0_67
.LBB0_69:                               ;   in Loop: Header=BB0_3 Depth=1
	.loc	1 29 21                         ; mv_aot.py:29:21
	v_lshl_add_u64 v[134:135], s[4:5], 0, v[4:5]
	.loc	1 31 20                         ; mv_aot.py:31:20
	global_load_dword v136, v[134:135], off
	s_or_b64 exec, exec, s[10:11]
	v_mov_b32_e32 v134, 0
	s_and_saveexec_b64 s[0:1], vcc
	s_cbranch_execz .LBB0_2
.LBB0_70:                               ;   in Loop: Header=BB0_3 Depth=1
	.loc	1 29 21                         ; mv_aot.py:29:21
	v_lshl_add_u64 v[134:135], s[4:5], 0, v[2:3]
	.loc	1 31 20                         ; mv_aot.py:31:20
	global_load_dword v134, v[134:135], off
	s_branch .LBB0_2
.LBB0_71:                               ; %._crit_edge.loopexit
.Ltmp2:
	.file	2 "/root/.local/lib/python3.13/site-packages/triton/language" "standard.py"
	.loc	2 263 15                        ; standard.py:263:15 @[ standard.py:293:36 @[ mv_aot.py:36:17 ] ]
	v_pk_add_f32 v[16:17], v[100:101], v[98:99]
	v_pk_add_f32 v[14:15], v[96:97], v[94:95]
	;; [unrolled: 1-line block ×8, first 2 shown]
.LBB0_72:                               ; %._crit_edge
	.loc	2 263 15                        ; standard.py:263:15 @[ standard.py:293:36 @[ mv_aot.py:36:17 ] ]
	v_add_f32_dpp v16, v16, v16 row_shr:8 row_mask:0xf bank_mask:0xf bound_ctrl:1
	v_add_f32_dpp v14, v14, v14 row_shr:8 row_mask:0xf bank_mask:0xf bound_ctrl:1
	;; [unrolled: 1-line block ×10, first 2 shown]
.Ltmp3:
	.loc	2 293 36                        ; standard.py:293:36 @[ mv_aot.py:36:17 ]
	v_mov_b32_e32 v18, v16
.Ltmp4:
	.loc	2 263 15                        ; standard.py:263:15 @[ standard.py:293:36 @[ mv_aot.py:36:17 ] ]
	v_add_f32_dpp v14, v14, v14 row_shr:1 row_mask:0xf bank_mask:0xf bound_ctrl:1
	v_add_f32_dpp v12, v12, v12 row_shr:1 row_mask:0xf bank_mask:0xf bound_ctrl:1
.Ltmp5:
	.loc	2 293 36                        ; standard.py:293:36 @[ mv_aot.py:36:17 ]
	v_mov_b32_dpp v18, v18 row_bcast:15 row_mask:0xa bank_mask:0xf bound_ctrl:1
.Ltmp6:
	.loc	2 263 15                        ; standard.py:263:15 @[ standard.py:293:36 @[ mv_aot.py:36:17 ] ]
	v_add_f32_e32 v16, v16, v18
	v_add_f32_dpp v10, v10, v10 row_shr:8 row_mask:0xf bank_mask:0xf bound_ctrl:1
	v_add_f32_dpp v8, v8, v8 row_shr:8 row_mask:0xf bank_mask:0xf bound_ctrl:1
	v_add_f32_dpp v16, v16, v16 row_bcast:31 row_mask:0xf bank_mask:0xf bound_ctrl:1
	v_add_f32_dpp v10, v10, v10 row_shr:4 row_mask:0xf bank_mask:0xf bound_ctrl:1
.Ltmp7:
	.loc	2 293 36                        ; standard.py:293:36 @[ mv_aot.py:36:17 ]
	v_readlane_b32 s2, v16, 63
.Ltmp8:
	.loc	2 263 15                        ; standard.py:263:15 @[ standard.py:293:36 @[ mv_aot.py:36:17 ] ]
	v_add_f32_dpp v16, v17, v17 row_shr:8 row_mask:0xf bank_mask:0xf bound_ctrl:1
	v_add_f32_dpp v10, v10, v10 row_shr:2 row_mask:0xf bank_mask:0xf bound_ctrl:1
	;; [unrolled: 1-line block ×10, first 2 shown]
.Ltmp9:
	.loc	2 293 36                        ; standard.py:293:36 @[ mv_aot.py:36:17 ]
	v_mov_b32_e32 v17, v16
.Ltmp10:
	.loc	2 263 15                        ; standard.py:263:15 @[ standard.py:293:36 @[ mv_aot.py:36:17 ] ]
	v_add_f32_dpp v6, v6, v6 row_shr:4 row_mask:0xf bank_mask:0xf bound_ctrl:1
	v_add_f32_dpp v4, v4, v4 row_shr:8 row_mask:0xf bank_mask:0xf bound_ctrl:1
.Ltmp11:
	.loc	2 293 36                        ; standard.py:293:36 @[ mv_aot.py:36:17 ]
	v_mov_b32_dpp v17, v17 row_bcast:15 row_mask:0xa bank_mask:0xf bound_ctrl:1
.Ltmp12:
	.loc	2 263 15                        ; standard.py:263:15 @[ standard.py:293:36 @[ mv_aot.py:36:17 ] ]
	v_add_f32_e32 v16, v16, v17
	v_add_f32_dpp v6, v6, v6 row_shr:2 row_mask:0xf bank_mask:0xf bound_ctrl:1
	v_add_f32_dpp v4, v4, v4 row_shr:4 row_mask:0xf bank_mask:0xf bound_ctrl:1
	v_add_f32_dpp v16, v16, v16 row_bcast:31 row_mask:0xf bank_mask:0xf bound_ctrl:1
	v_add_f32_dpp v6, v6, v6 row_shr:1 row_mask:0xf bank_mask:0xf bound_ctrl:1
.Ltmp13:
	.loc	2 293 36                        ; standard.py:293:36 @[ mv_aot.py:36:17 ]
	v_readlane_b32 s3, v16, 63
	v_mov_b32_e32 v16, v14
.Ltmp14:
	.loc	2 263 15                        ; standard.py:263:15 @[ standard.py:293:36 @[ mv_aot.py:36:17 ] ]
	v_add_f32_dpp v4, v4, v4 row_shr:2 row_mask:0xf bank_mask:0xf bound_ctrl:1
	v_add_f32_dpp v2, v2, v2 row_shr:8 row_mask:0xf bank_mask:0xf bound_ctrl:1
.Ltmp15:
	.loc	2 293 36                        ; standard.py:293:36 @[ mv_aot.py:36:17 ]
	v_mov_b32_dpp v16, v16 row_bcast:15 row_mask:0xa bank_mask:0xf bound_ctrl:1
.Ltmp16:
	.loc	2 263 15                        ; standard.py:263:15 @[ standard.py:293:36 @[ mv_aot.py:36:17 ] ]
	v_add_f32_e32 v14, v14, v16
	v_add_f32_dpp v4, v4, v4 row_shr:1 row_mask:0xf bank_mask:0xf bound_ctrl:1
	v_add_f32_dpp v2, v2, v2 row_shr:4 row_mask:0xf bank_mask:0xf bound_ctrl:1
	v_add_f32_dpp v14, v14, v14 row_bcast:31 row_mask:0xf bank_mask:0xf bound_ctrl:1
.Ltmp17:
	.loc	2 293 36                        ; standard.py:293:36 @[ mv_aot.py:36:17 ]
	v_cmp_eq_u32_e32 vcc, 0, v1
	v_readlane_b32 s4, v14, 63
.Ltmp18:
	.loc	2 263 15                        ; standard.py:263:15 @[ standard.py:293:36 @[ mv_aot.py:36:17 ] ]
	v_add_f32_dpp v14, v15, v15 row_shr:8 row_mask:0xf bank_mask:0xf bound_ctrl:1
	v_add_f32_dpp v2, v2, v2 row_shr:2 row_mask:0xf bank_mask:0xf bound_ctrl:1
	s_nop 0
	v_add_f32_dpp v14, v14, v14 row_shr:4 row_mask:0xf bank_mask:0xf bound_ctrl:1
	v_add_f32_dpp v2, v2, v2 row_shr:1 row_mask:0xf bank_mask:0xf bound_ctrl:1
	s_nop 0
	v_add_f32_dpp v14, v14, v14 row_shr:2 row_mask:0xf bank_mask:0xf bound_ctrl:1
	s_nop 1
	v_add_f32_dpp v14, v14, v14 row_shr:1 row_mask:0xf bank_mask:0xf bound_ctrl:1
.Ltmp19:
	.loc	2 293 36                        ; standard.py:293:36 @[ mv_aot.py:36:17 ]
	v_mov_b32_e32 v15, v14
	s_nop 1
	v_mov_b32_dpp v15, v15 row_bcast:15 row_mask:0xa bank_mask:0xf bound_ctrl:1
.Ltmp20:
	.loc	2 263 15                        ; standard.py:263:15 @[ standard.py:293:36 @[ mv_aot.py:36:17 ] ]
	v_add_f32_e32 v14, v14, v15
	s_nop 1
	v_add_f32_dpp v14, v14, v14 row_bcast:31 row_mask:0xf bank_mask:0xf bound_ctrl:1
.Ltmp21:
	.loc	2 293 36                        ; standard.py:293:36 @[ mv_aot.py:36:17 ]
	s_nop 0
	v_readlane_b32 s5, v14, 63
	v_mov_b32_e32 v14, v12
	s_nop 1
	v_mov_b32_dpp v14, v14 row_bcast:15 row_mask:0xa bank_mask:0xf bound_ctrl:1
.Ltmp22:
	.loc	2 263 15                        ; standard.py:263:15 @[ standard.py:293:36 @[ mv_aot.py:36:17 ] ]
	v_add_f32_e32 v12, v12, v14
	s_nop 1
	v_add_f32_dpp v12, v12, v12 row_bcast:31 row_mask:0xf bank_mask:0xf bound_ctrl:1
.Ltmp23:
	.loc	2 293 36                        ; standard.py:293:36 @[ mv_aot.py:36:17 ]
	s_nop 0
	v_readlane_b32 s9, v12, 63
.Ltmp24:
	.loc	2 263 15                        ; standard.py:263:15 @[ standard.py:293:36 @[ mv_aot.py:36:17 ] ]
	v_add_f32_dpp v12, v13, v13 row_shr:8 row_mask:0xf bank_mask:0xf bound_ctrl:1
	s_nop 1
	v_add_f32_dpp v12, v12, v12 row_shr:4 row_mask:0xf bank_mask:0xf bound_ctrl:1
	s_nop 1
	;; [unrolled: 2-line block ×3, first 2 shown]
	v_add_f32_dpp v12, v12, v12 row_shr:1 row_mask:0xf bank_mask:0xf bound_ctrl:1
.Ltmp25:
	.loc	2 293 36                        ; standard.py:293:36 @[ mv_aot.py:36:17 ]
	v_mov_b32_e32 v13, v12
	s_nop 1
	v_mov_b32_dpp v13, v13 row_bcast:15 row_mask:0xa bank_mask:0xf bound_ctrl:1
.Ltmp26:
	.loc	2 263 15                        ; standard.py:263:15 @[ standard.py:293:36 @[ mv_aot.py:36:17 ] ]
	v_add_f32_e32 v12, v12, v13
	s_nop 1
	v_add_f32_dpp v12, v12, v12 row_bcast:31 row_mask:0xf bank_mask:0xf bound_ctrl:1
.Ltmp27:
	.loc	2 293 36                        ; standard.py:293:36 @[ mv_aot.py:36:17 ]
	s_nop 0
	v_readlane_b32 s10, v12, 63
	v_mov_b32_e32 v12, v10
	s_nop 1
	v_mov_b32_dpp v12, v12 row_bcast:15 row_mask:0xa bank_mask:0xf bound_ctrl:1
.Ltmp28:
	.loc	2 263 15                        ; standard.py:263:15 @[ standard.py:293:36 @[ mv_aot.py:36:17 ] ]
	v_add_f32_e32 v10, v10, v12
	s_nop 1
	v_add_f32_dpp v10, v10, v10 row_bcast:31 row_mask:0xf bank_mask:0xf bound_ctrl:1
.Ltmp29:
	.loc	2 293 36                        ; standard.py:293:36 @[ mv_aot.py:36:17 ]
	s_nop 0
	v_readlane_b32 s11, v10, 63
.Ltmp30:
	.loc	2 263 15                        ; standard.py:263:15 @[ standard.py:293:36 @[ mv_aot.py:36:17 ] ]
	v_add_f32_dpp v10, v11, v11 row_shr:8 row_mask:0xf bank_mask:0xf bound_ctrl:1
	s_nop 1
	v_add_f32_dpp v10, v10, v10 row_shr:4 row_mask:0xf bank_mask:0xf bound_ctrl:1
	s_nop 1
	;; [unrolled: 2-line block ×3, first 2 shown]
	v_add_f32_dpp v10, v10, v10 row_shr:1 row_mask:0xf bank_mask:0xf bound_ctrl:1
.Ltmp31:
	.loc	2 293 36                        ; standard.py:293:36 @[ mv_aot.py:36:17 ]
	v_mov_b32_e32 v11, v10
	s_nop 1
	v_mov_b32_dpp v11, v11 row_bcast:15 row_mask:0xa bank_mask:0xf bound_ctrl:1
.Ltmp32:
	.loc	2 263 15                        ; standard.py:263:15 @[ standard.py:293:36 @[ mv_aot.py:36:17 ] ]
	v_add_f32_e32 v10, v10, v11
	s_nop 1
	v_add_f32_dpp v10, v10, v10 row_bcast:31 row_mask:0xf bank_mask:0xf bound_ctrl:1
.Ltmp33:
	.loc	2 293 36                        ; standard.py:293:36 @[ mv_aot.py:36:17 ]
	s_nop 0
	v_readlane_b32 s12, v10, 63
	v_mov_b32_e32 v10, v8
	s_nop 1
	v_mov_b32_dpp v10, v10 row_bcast:15 row_mask:0xa bank_mask:0xf bound_ctrl:1
.Ltmp34:
	.loc	2 263 15                        ; standard.py:263:15 @[ standard.py:293:36 @[ mv_aot.py:36:17 ] ]
	v_add_f32_e32 v8, v8, v10
	s_nop 1
	v_add_f32_dpp v8, v8, v8 row_bcast:31 row_mask:0xf bank_mask:0xf bound_ctrl:1
.Ltmp35:
	.loc	2 293 36                        ; standard.py:293:36 @[ mv_aot.py:36:17 ]
	s_nop 0
	v_readlane_b32 s14, v8, 63
.Ltmp36:
	.loc	2 263 15                        ; standard.py:263:15 @[ standard.py:293:36 @[ mv_aot.py:36:17 ] ]
	v_add_f32_dpp v8, v9, v9 row_shr:8 row_mask:0xf bank_mask:0xf bound_ctrl:1
	s_nop 1
	v_add_f32_dpp v8, v8, v8 row_shr:4 row_mask:0xf bank_mask:0xf bound_ctrl:1
	s_nop 1
	;; [unrolled: 2-line block ×3, first 2 shown]
	v_add_f32_dpp v8, v8, v8 row_shr:1 row_mask:0xf bank_mask:0xf bound_ctrl:1
.Ltmp37:
	.loc	2 293 36                        ; standard.py:293:36 @[ mv_aot.py:36:17 ]
	v_mov_b32_e32 v9, v8
	s_nop 1
	v_mov_b32_dpp v9, v9 row_bcast:15 row_mask:0xa bank_mask:0xf bound_ctrl:1
.Ltmp38:
	.loc	2 263 15                        ; standard.py:263:15 @[ standard.py:293:36 @[ mv_aot.py:36:17 ] ]
	v_add_f32_e32 v8, v8, v9
	s_nop 1
	v_add_f32_dpp v8, v8, v8 row_bcast:31 row_mask:0xf bank_mask:0xf bound_ctrl:1
.Ltmp39:
	.loc	2 293 36                        ; standard.py:293:36 @[ mv_aot.py:36:17 ]
	s_nop 0
	v_readlane_b32 s15, v8, 63
	v_mov_b32_e32 v8, v6
	s_nop 1
	v_mov_b32_dpp v8, v8 row_bcast:15 row_mask:0xa bank_mask:0xf bound_ctrl:1
.Ltmp40:
	.loc	2 263 15                        ; standard.py:263:15 @[ standard.py:293:36 @[ mv_aot.py:36:17 ] ]
	v_add_f32_e32 v6, v6, v8
	s_nop 1
	v_add_f32_dpp v6, v6, v6 row_bcast:31 row_mask:0xf bank_mask:0xf bound_ctrl:1
.Ltmp41:
	.loc	2 293 36                        ; standard.py:293:36 @[ mv_aot.py:36:17 ]
	s_nop 0
	v_readlane_b32 s16, v6, 63
.Ltmp42:
	.loc	2 263 15                        ; standard.py:263:15 @[ standard.py:293:36 @[ mv_aot.py:36:17 ] ]
	v_add_f32_dpp v6, v7, v7 row_shr:8 row_mask:0xf bank_mask:0xf bound_ctrl:1
	s_nop 1
	v_add_f32_dpp v6, v6, v6 row_shr:4 row_mask:0xf bank_mask:0xf bound_ctrl:1
	s_nop 1
	;; [unrolled: 2-line block ×3, first 2 shown]
	v_add_f32_dpp v6, v6, v6 row_shr:1 row_mask:0xf bank_mask:0xf bound_ctrl:1
.Ltmp43:
	.loc	2 293 36                        ; standard.py:293:36 @[ mv_aot.py:36:17 ]
	v_mov_b32_e32 v7, v6
	s_nop 1
	v_mov_b32_dpp v7, v7 row_bcast:15 row_mask:0xa bank_mask:0xf bound_ctrl:1
.Ltmp44:
	.loc	2 263 15                        ; standard.py:263:15 @[ standard.py:293:36 @[ mv_aot.py:36:17 ] ]
	v_add_f32_e32 v6, v6, v7
	s_nop 1
	v_add_f32_dpp v6, v6, v6 row_bcast:31 row_mask:0xf bank_mask:0xf bound_ctrl:1
.Ltmp45:
	.loc	2 293 36                        ; standard.py:293:36 @[ mv_aot.py:36:17 ]
	s_nop 0
	v_readlane_b32 s17, v6, 63
	v_mov_b32_e32 v6, v4
	s_nop 1
	v_mov_b32_dpp v6, v6 row_bcast:15 row_mask:0xa bank_mask:0xf bound_ctrl:1
.Ltmp46:
	.loc	2 263 15                        ; standard.py:263:15 @[ standard.py:293:36 @[ mv_aot.py:36:17 ] ]
	v_add_f32_e32 v4, v4, v6
	s_nop 1
	v_add_f32_dpp v4, v4, v4 row_bcast:31 row_mask:0xf bank_mask:0xf bound_ctrl:1
.Ltmp47:
	.loc	2 293 36                        ; standard.py:293:36 @[ mv_aot.py:36:17 ]
	s_nop 0
	v_readlane_b32 s18, v4, 63
.Ltmp48:
	.loc	2 263 15                        ; standard.py:263:15 @[ standard.py:293:36 @[ mv_aot.py:36:17 ] ]
	v_add_f32_dpp v4, v5, v5 row_shr:8 row_mask:0xf bank_mask:0xf bound_ctrl:1
	s_nop 1
	v_add_f32_dpp v4, v4, v4 row_shr:4 row_mask:0xf bank_mask:0xf bound_ctrl:1
	s_nop 1
	;; [unrolled: 2-line block ×3, first 2 shown]
	v_add_f32_dpp v4, v4, v4 row_shr:1 row_mask:0xf bank_mask:0xf bound_ctrl:1
.Ltmp49:
	.loc	2 293 36                        ; standard.py:293:36 @[ mv_aot.py:36:17 ]
	v_mov_b32_e32 v5, v4
	s_nop 1
	v_mov_b32_dpp v5, v5 row_bcast:15 row_mask:0xa bank_mask:0xf bound_ctrl:1
.Ltmp50:
	.loc	2 263 15                        ; standard.py:263:15 @[ standard.py:293:36 @[ mv_aot.py:36:17 ] ]
	v_add_f32_e32 v4, v4, v5
	s_nop 1
	v_add_f32_dpp v4, v4, v4 row_bcast:31 row_mask:0xf bank_mask:0xf bound_ctrl:1
.Ltmp51:
	.loc	2 293 36                        ; standard.py:293:36 @[ mv_aot.py:36:17 ]
	s_nop 0
	v_readlane_b32 s19, v4, 63
	v_mov_b32_e32 v4, v2
	s_nop 1
	v_mov_b32_dpp v4, v4 row_bcast:15 row_mask:0xa bank_mask:0xf bound_ctrl:1
.Ltmp52:
	.loc	2 263 15                        ; standard.py:263:15 @[ standard.py:293:36 @[ mv_aot.py:36:17 ] ]
	v_add_f32_e32 v2, v2, v4
	s_nop 1
	v_add_f32_dpp v2, v2, v2 row_bcast:31 row_mask:0xf bank_mask:0xf bound_ctrl:1
.Ltmp53:
	.loc	2 293 36                        ; standard.py:293:36 @[ mv_aot.py:36:17 ]
	s_nop 0
	v_readlane_b32 s20, v2, 63
.Ltmp54:
	.loc	2 263 15                        ; standard.py:263:15 @[ standard.py:293:36 @[ mv_aot.py:36:17 ] ]
	v_add_f32_dpp v2, v3, v3 row_shr:8 row_mask:0xf bank_mask:0xf bound_ctrl:1
	s_nop 1
	v_add_f32_dpp v2, v2, v2 row_shr:4 row_mask:0xf bank_mask:0xf bound_ctrl:1
	s_nop 1
	;; [unrolled: 2-line block ×3, first 2 shown]
	v_add_f32_dpp v2, v2, v2 row_shr:1 row_mask:0xf bank_mask:0xf bound_ctrl:1
.Ltmp55:
	.loc	2 293 36                        ; standard.py:293:36 @[ mv_aot.py:36:17 ]
	v_mov_b32_e32 v3, v2
	s_nop 1
	v_mov_b32_dpp v3, v3 row_bcast:15 row_mask:0xa bank_mask:0xf bound_ctrl:1
.Ltmp56:
	.loc	2 263 15                        ; standard.py:263:15 @[ standard.py:293:36 @[ mv_aot.py:36:17 ] ]
	v_add_f32_e32 v2, v2, v3
	s_nop 1
	v_add_f32_dpp v2, v2, v2 row_bcast:31 row_mask:0xf bank_mask:0xf bound_ctrl:1
.Ltmp57:
	.loc	2 293 36                        ; standard.py:293:36 @[ mv_aot.py:36:17 ]
	s_nop 0
	v_readlane_b32 s21, v2, 63
	s_and_saveexec_b64 s[0:1], vcc
	s_cbranch_execz .LBB0_74
; %bb.73:                               ; %.critedge
	s_lshr_b32 s22, s53, 4
	s_and_b32 s22, s22, 12
	s_add_i32 s22, s22, 0
	v_mov_b32_e32 v1, s22
	v_mov_b32_e32 v2, s2
	;; [unrolled: 1-line block ×3, first 2 shown]
	ds_write2_b32 v1, v2, v3 offset1:4
	v_mov_b32_e32 v2, s4
	v_mov_b32_e32 v3, s5
	ds_write2_b32 v1, v2, v3 offset0:8 offset1:12
	v_mov_b32_e32 v2, s9
	v_mov_b32_e32 v3, s10
	ds_write2_b32 v1, v2, v3 offset0:16 offset1:20
	;; [unrolled: 3-line block ×7, first 2 shown]
.LBB0_74:                               ; %.critedge28
	.loc	2 0 36 is_stmt 0                ; standard.py:0:36
	s_or_b64 exec, exec, s[0:1]
	.loc	2 293 36                        ; standard.py:293:36 @[ mv_aot.py:36:17 ]
	v_cmp_gt_u32_e32 vcc, 64, v0
	v_lshl_add_u32 v1, v0, 2, 0
.Ltmp58:
	.loc	1 36 17 is_stmt 1               ; mv_aot.py:36:17
	v_mov_b32_e32 v2, 0
.Ltmp59:
	.loc	2 293 36                        ; standard.py:293:36 @[ mv_aot.py:36:17 ]
	s_waitcnt lgkmcnt(0)
	s_barrier
	s_and_saveexec_b64 s[0:1], vcc
; %bb.75:
	ds_read_b32 v2, v1
; %bb.76:
	.loc	2 0 36 is_stmt 0                ; standard.py:0:36
	s_or_b64 exec, exec, s[0:1]
	.loc	2 293 36                        ; standard.py:293:36 @[ mv_aot.py:36:17 ]
	s_waitcnt lgkmcnt(0)
	v_mov_b32_e32 v3, v2
	v_and_b32_e32 v4, 3, v0
	v_cmp_eq_u32_e64 s[0:1], 0, v4
	v_mov_b32_dpp v3, v3 quad_perm:[2,3,0,1] row_mask:0xf bank_mask:0xf
.Ltmp60:
	.loc	2 263 15 is_stmt 1              ; standard.py:263:15 @[ standard.py:293:36 @[ mv_aot.py:36:17 ] ]
	v_add_f32_e32 v2, v2, v3
.Ltmp61:
	.loc	2 293 36                        ; standard.py:293:36 @[ mv_aot.py:36:17 ]
	v_mov_b32_e32 v3, v2
	s_and_b64 s[2:3], vcc, s[0:1]
	s_nop 0
	v_mov_b32_dpp v3, v3 quad_perm:[1,0,3,2] row_mask:0xf bank_mask:0xf
	s_and_saveexec_b64 s[0:1], s[2:3]
; %bb.77:
	.loc	2 0 36 is_stmt 0                ; standard.py:0:36
	v_add_f32_e32 v2, v2, v3
	.loc	2 293 36                        ; standard.py:293:36 @[ mv_aot.py:36:17 ]
	ds_write_b32 v1, v2
; %bb.78:
	.loc	2 0 36                          ; standard.py:0:36
	s_or_b64 exec, exec, s[0:1]
	.loc	2 293 36                        ; standard.py:293:36 @[ mv_aot.py:36:17 ]
	v_mov_b32_e32 v3, 0
	s_waitcnt lgkmcnt(0)
	s_barrier
	ds_read_b32 v4, v3
	ds_read_b32 v5, v3 offset:16
	ds_read_b32 v6, v3 offset:32
	;; [unrolled: 1-line block ×15, first 2 shown]
.Ltmp62:
	.loc	1 22 53 is_stmt 1               ; mv_aot.py:22:53
	v_and_b32_e32 v2, 15, v0
	.loc	1 22 31 is_stmt 0               ; mv_aot.py:22:31
	v_or_b32_e32 v1, s52, v2
	.loc	1 38 21 is_stmt 1               ; mv_aot.py:38:21
	v_and_or_b32 v0, v0, 48, s33
	.loc	1 24 24                         ; mv_aot.py:24:24
	v_cmp_gt_i32_e32 vcc, s8, v1
	.loc	1 38 21                         ; mv_aot.py:38:21
	v_cmp_eq_u32_e64 s[0:1], 0, v0
	s_and_b64 s[0:1], vcc, s[0:1]
	.loc	1 38 25 is_stmt 0               ; mv_aot.py:38:25
	s_waitcnt lgkmcnt(0)
	s_barrier
	ds_write_b128 v3, v[4:7]
	ds_write_b128 v3, v[8:11] offset:16
	ds_write_b128 v3, v[12:15] offset:32
	;; [unrolled: 1-line block ×3, first 2 shown]
	s_waitcnt lgkmcnt(0)
	s_barrier
	.loc	1 38 21                         ; mv_aot.py:38:21
	s_and_saveexec_b64 s[2:3], s[0:1]
	s_cbranch_execz .LBB0_80
; %bb.79:
	.loc	1 38 25                         ; mv_aot.py:38:25
	v_lshl_add_u32 v0, v2, 2, 0
	.loc	1 38 21                         ; mv_aot.py:38:21
	ds_read_b32 v2, v0
	.loc	1 37 28 is_stmt 1               ; mv_aot.py:37:28
	v_mul_lo_u32 v0, s13, v1
	.loc	1 37 17 is_stmt 0               ; mv_aot.py:37:17
	v_ashrrev_i32_e32 v1, 31, v0
	v_lshl_add_u64 v[0:1], v[0:1], 2, s[6:7]
	.loc	1 38 21 is_stmt 1               ; mv_aot.py:38:21
	s_waitcnt lgkmcnt(0)
	global_store_dword v[0:1], v2, off
.LBB0_80:
	.loc	1 38 4 is_stmt 0                ; mv_aot.py:38:4
	s_endpgm
.Ltmp63:
	.section	.rodata,"a",@progbits
	.p2align	6, 0x0
	.amdhsa_kernel mv_kernel
		.amdhsa_group_segment_fixed_size 0
		.amdhsa_private_segment_fixed_size 0
		.amdhsa_kernarg_size 64
		.amdhsa_user_sgpr_count 16
		.amdhsa_user_sgpr_dispatch_ptr 0
		.amdhsa_user_sgpr_queue_ptr 0
		.amdhsa_user_sgpr_kernarg_segment_ptr 1
		.amdhsa_user_sgpr_dispatch_id 0
		.amdhsa_user_sgpr_kernarg_preload_length 14
		.amdhsa_user_sgpr_kernarg_preload_offset 0
		.amdhsa_user_sgpr_private_segment_size 0
		.amdhsa_uses_dynamic_stack 0
		.amdhsa_enable_private_segment 0
		.amdhsa_system_sgpr_workgroup_id_x 1
		.amdhsa_system_sgpr_workgroup_id_y 0
		.amdhsa_system_sgpr_workgroup_id_z 0
		.amdhsa_system_sgpr_workgroup_info 0
		.amdhsa_system_vgpr_workitem_id 0
		.amdhsa_next_free_vgpr 139
		.amdhsa_next_free_sgpr 62
		.amdhsa_accum_offset 140
		.amdhsa_reserve_vcc 1
		.amdhsa_reserve_xnack_mask 1
		.amdhsa_float_round_mode_32 0
		.amdhsa_float_round_mode_16_64 0
		.amdhsa_float_denorm_mode_32 3
		.amdhsa_float_denorm_mode_16_64 3
		.amdhsa_dx10_clamp 1
		.amdhsa_ieee_mode 1
		.amdhsa_fp16_overflow 0
		.amdhsa_tg_split 0
		.amdhsa_exception_fp_ieee_invalid_op 0
		.amdhsa_exception_fp_denorm_src 0
		.amdhsa_exception_fp_ieee_div_zero 0
		.amdhsa_exception_fp_ieee_overflow 0
		.amdhsa_exception_fp_ieee_underflow 0
		.amdhsa_exception_fp_ieee_inexact 0
		.amdhsa_exception_int_div_zero 0
	.end_amdhsa_kernel
	.text
.Lfunc_end0:
	.size	mv_kernel, .Lfunc_end0-mv_kernel
	.cfi_endproc
                                        ; -- End function
	.set mv_kernel.num_vgpr, 139
	.set mv_kernel.num_agpr, 0
	.set mv_kernel.numbered_sgpr, 62
	.set mv_kernel.num_named_barrier, 0
	.set mv_kernel.private_seg_size, 0
	.set mv_kernel.uses_vcc, 1
	.set mv_kernel.uses_flat_scratch, 0
	.set mv_kernel.has_dyn_sized_stack, 0
	.set mv_kernel.has_recursion, 0
	.set mv_kernel.has_indirect_call, 0
	.section	.AMDGPU.csdata,"",@progbits
; Kernel info:
; codeLenInByte = 4620
; TotalNumSgprs: 68
; NumVgprs: 139
; NumAgprs: 0
; TotalNumVgprs: 139
; ScratchSize: 0
; MemoryBound: 0
; FloatMode: 240
; IeeeMode: 1
; LDSByteSize: 0 bytes/workgroup (compile time only)
; SGPRBlocks: 8
; VGPRBlocks: 17
; NumSGPRsForWavesPerEU: 68
; NumVGPRsForWavesPerEU: 139
; AccumOffset: 140
; Occupancy: 3
; WaveLimiterHint : 0
; COMPUTE_PGM_RSRC2:SCRATCH_EN: 0
; COMPUTE_PGM_RSRC2:USER_SGPR: 16
; COMPUTE_PGM_RSRC2:TRAP_HANDLER: 0
; COMPUTE_PGM_RSRC2:TGID_X_EN: 1
; COMPUTE_PGM_RSRC2:TGID_Y_EN: 0
; COMPUTE_PGM_RSRC2:TGID_Z_EN: 0
; COMPUTE_PGM_RSRC2:TIDIG_COMP_CNT: 0
; COMPUTE_PGM_RSRC3_GFX90A:ACCUM_OFFSET: 34
; COMPUTE_PGM_RSRC3_GFX90A:TG_SPLIT: 0
	.text
	.p2alignl 6, 3212836864
	.fill 256, 4, 3212836864
	.section	.AMDGPU.gpr_maximums,"",@progbits
	.set amdgpu.max_num_vgpr, 0
	.set amdgpu.max_num_agpr, 0
	.set amdgpu.max_num_sgpr, 0
	.set amdgpu.max_num_named_barrier, 0
	.text
	.section	.debug_abbrev,"",@progbits
	.byte	1                               ; Abbreviation Code
	.byte	17                              ; DW_TAG_compile_unit
	.byte	1                               ; DW_CHILDREN_yes
	.byte	37                              ; DW_AT_producer
	.byte	14                              ; DW_FORM_strp
	.byte	19                              ; DW_AT_language
	.byte	5                               ; DW_FORM_data2
	.byte	3                               ; DW_AT_name
	.byte	14                              ; DW_FORM_strp
	.byte	16                              ; DW_AT_stmt_list
	.byte	23                              ; DW_FORM_sec_offset
	.byte	27                              ; DW_AT_comp_dir
	.byte	14                              ; DW_FORM_strp
	.byte	17                              ; DW_AT_low_pc
	.byte	1                               ; DW_FORM_addr
	.byte	18                              ; DW_AT_high_pc
	.byte	6                               ; DW_FORM_data4
	.byte	0                               ; EOM(1)
	.byte	0                               ; EOM(2)
	.byte	2                               ; Abbreviation Code
	.byte	46                              ; DW_TAG_subprogram
	.byte	0                               ; DW_CHILDREN_no
	.byte	3                               ; DW_AT_name
	.byte	14                              ; DW_FORM_strp
	.byte	32                              ; DW_AT_inline
	.byte	11                              ; DW_FORM_data1
	.byte	0                               ; EOM(1)
	.byte	0                               ; EOM(2)
	.byte	3                               ; Abbreviation Code
	.byte	46                              ; DW_TAG_subprogram
	.byte	1                               ; DW_CHILDREN_yes
	.byte	17                              ; DW_AT_low_pc
	.byte	1                               ; DW_FORM_addr
	.byte	18                              ; DW_AT_high_pc
	.byte	6                               ; DW_FORM_data4
	.byte	49                              ; DW_AT_abstract_origin
	.byte	19                              ; DW_FORM_ref4
	.byte	0                               ; EOM(1)
	.byte	0                               ; EOM(2)
	.byte	4                               ; Abbreviation Code
	.byte	29                              ; DW_TAG_inlined_subroutine
	.byte	1                               ; DW_CHILDREN_yes
	.byte	49                              ; DW_AT_abstract_origin
	.byte	19                              ; DW_FORM_ref4
	.byte	85                              ; DW_AT_ranges
	.byte	23                              ; DW_FORM_sec_offset
	.byte	88                              ; DW_AT_call_file
	.byte	11                              ; DW_FORM_data1
	.byte	89                              ; DW_AT_call_line
	.byte	11                              ; DW_FORM_data1
	.byte	87                              ; DW_AT_call_column
	.byte	11                              ; DW_FORM_data1
	.byte	0                               ; EOM(1)
	.byte	0                               ; EOM(2)
	.byte	5                               ; Abbreviation Code
	.byte	29                              ; DW_TAG_inlined_subroutine
	.byte	0                               ; DW_CHILDREN_no
	.byte	49                              ; DW_AT_abstract_origin
	.byte	19                              ; DW_FORM_ref4
	.byte	85                              ; DW_AT_ranges
	.byte	23                              ; DW_FORM_sec_offset
	.byte	88                              ; DW_AT_call_file
	.byte	11                              ; DW_FORM_data1
	.byte	89                              ; DW_AT_call_line
	.byte	5                               ; DW_FORM_data2
	.byte	87                              ; DW_AT_call_column
	.byte	11                              ; DW_FORM_data1
	.byte	0                               ; EOM(1)
	.byte	0                               ; EOM(2)
	;; [unrolled: 1-line block ×3, first 2 shown]
	.section	.debug_info,"",@progbits
.Lcu_begin0:
	.long	.Ldebug_info_end0-.Ldebug_info_start0 ; Length of Unit
.Ldebug_info_start0:
	.short	4                               ; DWARF version number
	.long	.debug_abbrev                   ; Offset Into Abbrev. Section
	.byte	8                               ; Address Size (in bytes)
	.byte	1                               ; Abbrev [1] 0xb:0x52 DW_TAG_compile_unit
	.long	.Linfo_string0                  ; DW_AT_producer
	.short	2                               ; DW_AT_language
	.long	.Linfo_string1                  ; DW_AT_name
	.long	.Lline_table_start0             ; DW_AT_stmt_list
	.long	.Linfo_string2                  ; DW_AT_comp_dir
	.quad	.Lfunc_begin0                   ; DW_AT_low_pc
	.long	.Lfunc_end0-.Lfunc_begin0       ; DW_AT_high_pc
	.byte	2                               ; Abbrev [2] 0x2a:0x6 DW_TAG_subprogram
	.long	.Linfo_string3                  ; DW_AT_name
	.byte	1                               ; DW_AT_inline
	.byte	3                               ; Abbrev [3] 0x30:0x2c DW_TAG_subprogram
	.quad	.Lfunc_begin0                   ; DW_AT_low_pc
	.long	.Lfunc_end0-.Lfunc_begin0       ; DW_AT_high_pc
	.long	42                              ; DW_AT_abstract_origin
	.byte	4                               ; Abbrev [4] 0x41:0x1a DW_TAG_inlined_subroutine
	.long	42                              ; DW_AT_abstract_origin
	.long	.Ldebug_ranges0                 ; DW_AT_ranges
	.byte	1                               ; DW_AT_call_file
	.byte	36                              ; DW_AT_call_line
	.byte	17                              ; DW_AT_call_column
	.byte	5                               ; Abbrev [5] 0x4d:0xd DW_TAG_inlined_subroutine
	.long	42                              ; DW_AT_abstract_origin
	.long	.Ldebug_ranges1                 ; DW_AT_ranges
	.byte	2                               ; DW_AT_call_file
	.short	293                             ; DW_AT_call_line
	.byte	36                              ; DW_AT_call_column
	.byte	0                               ; End Of Children Mark
	.byte	0                               ; End Of Children Mark
	;; [unrolled: 1-line block ×3, first 2 shown]
.Ldebug_info_end0:
	.section	.debug_ranges,"",@progbits
.Ldebug_ranges0:
	.quad	.Ltmp2-.Lfunc_begin0
	.quad	.Ltmp58-.Lfunc_begin0
	;; [unrolled: 1-line block ×4, first 2 shown]
	.quad	0
	.quad	0
.Ldebug_ranges1:
	.quad	.Ltmp2-.Lfunc_begin0
	.quad	.Ltmp3-.Lfunc_begin0
	;; [unrolled: 1-line block ×58, first 2 shown]
	.quad	0
	.quad	0
	.section	.debug_str,"MS",@progbits,1
.Linfo_string0:
	.asciz	"triton"                        ; string offset=0
.Linfo_string1:
	.asciz	"mv_aot.py"                     ; string offset=7
.Linfo_string2:
	.asciz	"/root/src/amdgpu-assembly/repos/FlagOpen__FlagGems/triton_aot_kernels" ; string offset=17
.Linfo_string3:
	.asciz	"mv_kernel"                     ; string offset=87
	.section	".note.GNU-stack","",@progbits
	.amdgpu_metadata
---
amdhsa.kernels:
  - .agpr_count:     0
    .args:
      - .address_space:  global
        .offset:         0
        .size:           8
        .value_kind:     global_buffer
      - .address_space:  global
        .offset:         8
        .size:           8
        .value_kind:     global_buffer
      - .address_space:  global
        .offset:         16
        .size:           8
        .value_kind:     global_buffer
      - .offset:         24
        .size:           4
        .value_kind:     by_value
      - .offset:         28
        .size:           4
        .value_kind:     by_value
      - .offset:         32
        .size:           4
        .value_kind:     by_value
      - .offset:         36
        .size:           4
        .value_kind:     by_value
      - .offset:         40
        .size:           4
        .value_kind:     by_value
      - .offset:         44
        .size:           4
        .value_kind:     by_value
      - .address_space:  global
        .offset:         48
        .size:           8
        .value_kind:     global_buffer
      - .address_space:  global
        .offset:         56
        .size:           8
        .value_kind:     global_buffer
    .group_segment_fixed_size: 0
    .kernarg_segment_align: 8
    .kernarg_segment_size: 64
    .max_flat_workgroup_size: 256
    .name:           mv_kernel
    .private_segment_fixed_size: 0
    .sgpr_count:     68
    .sgpr_spill_count: 0
    .symbol:         mv_kernel.kd
    .uniform_work_group_size: 1
    .uses_dynamic_stack: false
    .vgpr_count:     139
    .vgpr_spill_count: 0
    .wavefront_size: 64
amdhsa.target:   amdgcn-amd-amdhsa--gfx950
amdhsa.version:
  - 1
  - 2
...

	.end_amdgpu_metadata
	.section	.debug_line,"",@progbits
.Lline_table_start0:
